;; amdgpu-corpus repo=ROCm/rocFFT kind=compiled arch=gfx950 opt=O3
	.text
	.amdgcn_target "amdgcn-amd-amdhsa--gfx950"
	.amdhsa_code_object_version 6
	.protected	fft_rtc_fwd_len432_factors_3_16_3_3_wgs_54_tpt_27_halfLds_sp_ip_CI_unitstride_sbrr_dirReg ; -- Begin function fft_rtc_fwd_len432_factors_3_16_3_3_wgs_54_tpt_27_halfLds_sp_ip_CI_unitstride_sbrr_dirReg
	.globl	fft_rtc_fwd_len432_factors_3_16_3_3_wgs_54_tpt_27_halfLds_sp_ip_CI_unitstride_sbrr_dirReg
	.p2align	8
	.type	fft_rtc_fwd_len432_factors_3_16_3_3_wgs_54_tpt_27_halfLds_sp_ip_CI_unitstride_sbrr_dirReg,@function
fft_rtc_fwd_len432_factors_3_16_3_3_wgs_54_tpt_27_halfLds_sp_ip_CI_unitstride_sbrr_dirReg: ; @fft_rtc_fwd_len432_factors_3_16_3_3_wgs_54_tpt_27_halfLds_sp_ip_CI_unitstride_sbrr_dirReg
; %bb.0:
	s_load_dwordx2 s[4:5], s[0:1], 0x50
	s_load_dwordx4 s[8:11], s[0:1], 0x0
	s_load_dwordx2 s[6:7], s[0:1], 0x18
	v_mul_u32_u24_e32 v1, 0x97c, v0
	v_lshrrev_b32_e32 v12, 16, v1
	v_lshl_add_u32 v6, s2, 1, v12
	v_mov_b32_e32 v4, 0
	s_waitcnt lgkmcnt(0)
	v_cmp_lt_u64_e64 s[2:3], s[10:11], 2
	v_mov_b32_e32 v7, v4
	s_and_b64 vcc, exec, s[2:3]
	v_mov_b64_e32 v[2:3], 0
	s_cbranch_vccnz .LBB0_8
; %bb.1:
	s_load_dwordx2 s[2:3], s[0:1], 0x10
	s_add_u32 s12, s6, 8
	s_addc_u32 s13, s7, 0
	s_mov_b64 s[14:15], 1
	v_mov_b64_e32 v[2:3], 0
	s_waitcnt lgkmcnt(0)
	s_add_u32 s16, s2, 8
	s_addc_u32 s17, s3, 0
.LBB0_2:                                ; =>This Inner Loop Header: Depth=1
	s_load_dwordx2 s[18:19], s[16:17], 0x0
                                        ; implicit-def: $vgpr8_vgpr9
	s_waitcnt lgkmcnt(0)
	v_or_b32_e32 v5, s19, v7
	v_cmp_ne_u64_e32 vcc, 0, v[4:5]
	s_and_saveexec_b64 s[2:3], vcc
	s_xor_b64 s[20:21], exec, s[2:3]
	s_cbranch_execz .LBB0_4
; %bb.3:                                ;   in Loop: Header=BB0_2 Depth=1
	v_cvt_f32_u32_e32 v1, s18
	v_cvt_f32_u32_e32 v5, s19
	s_sub_u32 s2, 0, s18
	s_subb_u32 s3, 0, s19
	v_fmac_f32_e32 v1, 0x4f800000, v5
	v_rcp_f32_e32 v1, v1
	s_nop 0
	v_mul_f32_e32 v1, 0x5f7ffffc, v1
	v_mul_f32_e32 v5, 0x2f800000, v1
	v_trunc_f32_e32 v5, v5
	v_fmac_f32_e32 v1, 0xcf800000, v5
	v_cvt_u32_f32_e32 v5, v5
	v_cvt_u32_f32_e32 v1, v1
	v_mul_lo_u32 v8, s2, v5
	v_mul_hi_u32 v10, s2, v1
	v_mul_lo_u32 v9, s3, v1
	v_add_u32_e32 v10, v10, v8
	v_mul_lo_u32 v13, s2, v1
	v_add_u32_e32 v14, v10, v9
	v_mul_hi_u32 v8, v1, v13
	v_mul_hi_u32 v11, v1, v14
	v_mul_lo_u32 v10, v1, v14
	v_mov_b32_e32 v9, v4
	v_lshl_add_u64 v[8:9], v[8:9], 0, v[10:11]
	v_mul_hi_u32 v11, v5, v13
	v_mul_lo_u32 v13, v5, v13
	v_add_co_u32_e32 v8, vcc, v8, v13
	v_mul_hi_u32 v10, v5, v14
	s_nop 0
	v_addc_co_u32_e32 v8, vcc, v9, v11, vcc
	v_mov_b32_e32 v9, v4
	s_nop 0
	v_addc_co_u32_e32 v11, vcc, 0, v10, vcc
	v_mul_lo_u32 v10, v5, v14
	v_lshl_add_u64 v[8:9], v[8:9], 0, v[10:11]
	v_add_co_u32_e32 v1, vcc, v1, v8
	v_mul_lo_u32 v10, s2, v1
	s_nop 0
	v_addc_co_u32_e32 v5, vcc, v5, v9, vcc
	v_mul_lo_u32 v8, s2, v5
	v_mul_hi_u32 v9, s2, v1
	v_add_u32_e32 v8, v9, v8
	v_mul_lo_u32 v9, s3, v1
	v_add_u32_e32 v13, v8, v9
	v_mul_hi_u32 v15, v5, v10
	v_mul_lo_u32 v16, v5, v10
	v_mul_hi_u32 v9, v1, v13
	v_mul_lo_u32 v8, v1, v13
	v_mul_hi_u32 v10, v1, v10
	v_mov_b32_e32 v11, v4
	v_lshl_add_u64 v[8:9], v[10:11], 0, v[8:9]
	v_add_co_u32_e32 v8, vcc, v8, v16
	v_mul_hi_u32 v14, v5, v13
	s_nop 0
	v_addc_co_u32_e32 v8, vcc, v9, v15, vcc
	v_mul_lo_u32 v10, v5, v13
	s_nop 0
	v_addc_co_u32_e32 v11, vcc, 0, v14, vcc
	v_mov_b32_e32 v9, v4
	v_lshl_add_u64 v[8:9], v[8:9], 0, v[10:11]
	v_add_co_u32_e32 v1, vcc, v1, v8
	v_mul_hi_u32 v10, v6, v1
	s_nop 0
	v_addc_co_u32_e32 v5, vcc, v5, v9, vcc
	v_mad_u64_u32 v[8:9], s[2:3], v6, v5, 0
	v_mov_b32_e32 v11, v4
	v_lshl_add_u64 v[8:9], v[10:11], 0, v[8:9]
	v_mad_u64_u32 v[14:15], s[2:3], v7, v1, 0
	v_add_co_u32_e32 v1, vcc, v8, v14
	v_mad_u64_u32 v[10:11], s[2:3], v7, v5, 0
	s_nop 0
	v_addc_co_u32_e32 v8, vcc, v9, v15, vcc
	v_mov_b32_e32 v9, v4
	s_nop 0
	v_addc_co_u32_e32 v11, vcc, 0, v11, vcc
	v_lshl_add_u64 v[8:9], v[8:9], 0, v[10:11]
	v_mul_lo_u32 v1, s19, v8
	v_mul_lo_u32 v5, s18, v9
	v_mad_u64_u32 v[10:11], s[2:3], s18, v8, 0
	v_add3_u32 v1, v11, v5, v1
	v_sub_u32_e32 v5, v7, v1
	v_mov_b32_e32 v11, s19
	v_sub_co_u32_e32 v13, vcc, v6, v10
	v_lshl_add_u64 v[14:15], v[8:9], 0, 1
	s_nop 0
	v_subb_co_u32_e64 v5, s[2:3], v5, v11, vcc
	v_subrev_co_u32_e64 v10, s[2:3], s18, v13
	v_subb_co_u32_e32 v1, vcc, v7, v1, vcc
	s_nop 0
	v_subbrev_co_u32_e64 v5, s[2:3], 0, v5, s[2:3]
	v_cmp_le_u32_e64 s[2:3], s19, v5
	v_cmp_le_u32_e32 vcc, s19, v1
	s_nop 0
	v_cndmask_b32_e64 v11, 0, -1, s[2:3]
	v_cmp_le_u32_e64 s[2:3], s18, v10
	s_nop 1
	v_cndmask_b32_e64 v10, 0, -1, s[2:3]
	v_cmp_eq_u32_e64 s[2:3], s19, v5
	s_nop 1
	v_cndmask_b32_e64 v5, v11, v10, s[2:3]
	v_lshl_add_u64 v[10:11], v[8:9], 0, 2
	v_cmp_ne_u32_e64 s[2:3], 0, v5
	s_nop 1
	v_cndmask_b32_e64 v5, v15, v11, s[2:3]
	v_cndmask_b32_e64 v11, 0, -1, vcc
	v_cmp_le_u32_e32 vcc, s18, v13
	s_nop 1
	v_cndmask_b32_e64 v13, 0, -1, vcc
	v_cmp_eq_u32_e32 vcc, s19, v1
	s_nop 1
	v_cndmask_b32_e32 v1, v11, v13, vcc
	v_cmp_ne_u32_e32 vcc, 0, v1
	v_cndmask_b32_e64 v1, v14, v10, s[2:3]
	s_nop 0
	v_cndmask_b32_e32 v9, v9, v5, vcc
	v_cndmask_b32_e32 v8, v8, v1, vcc
.LBB0_4:                                ;   in Loop: Header=BB0_2 Depth=1
	s_andn2_saveexec_b64 s[2:3], s[20:21]
	s_cbranch_execz .LBB0_6
; %bb.5:                                ;   in Loop: Header=BB0_2 Depth=1
	v_cvt_f32_u32_e32 v1, s18
	s_sub_i32 s20, 0, s18
	v_rcp_iflag_f32_e32 v1, v1
	s_nop 0
	v_mul_f32_e32 v1, 0x4f7ffffe, v1
	v_cvt_u32_f32_e32 v1, v1
	v_mul_lo_u32 v5, s20, v1
	v_mul_hi_u32 v5, v1, v5
	v_add_u32_e32 v1, v1, v5
	v_mul_hi_u32 v1, v6, v1
	v_mul_lo_u32 v5, v1, s18
	v_sub_u32_e32 v5, v6, v5
	v_add_u32_e32 v8, 1, v1
	v_subrev_u32_e32 v9, s18, v5
	v_cmp_le_u32_e32 vcc, s18, v5
	s_nop 1
	v_cndmask_b32_e32 v5, v5, v9, vcc
	v_cndmask_b32_e32 v1, v1, v8, vcc
	v_add_u32_e32 v8, 1, v1
	v_cmp_le_u32_e32 vcc, s18, v5
	v_mov_b32_e32 v9, v4
	s_nop 0
	v_cndmask_b32_e32 v8, v1, v8, vcc
.LBB0_6:                                ;   in Loop: Header=BB0_2 Depth=1
	s_or_b64 exec, exec, s[2:3]
	v_mad_u64_u32 v[10:11], s[2:3], v8, s18, 0
	s_load_dwordx2 s[2:3], s[12:13], 0x0
	v_mul_lo_u32 v1, v9, s18
	v_mul_lo_u32 v5, v8, s19
	v_add3_u32 v1, v11, v5, v1
	v_sub_co_u32_e32 v5, vcc, v6, v10
	s_add_u32 s14, s14, 1
	s_nop 0
	v_subb_co_u32_e32 v1, vcc, v7, v1, vcc
	s_addc_u32 s15, s15, 0
	s_waitcnt lgkmcnt(0)
	v_mul_lo_u32 v1, s2, v1
	v_mul_lo_u32 v6, s3, v5
	v_mad_u64_u32 v[2:3], s[2:3], s2, v5, v[2:3]
	s_add_u32 s12, s12, 8
	v_add3_u32 v3, v6, v3, v1
	s_addc_u32 s13, s13, 0
	v_mov_b64_e32 v[6:7], s[10:11]
	s_add_u32 s16, s16, 8
	v_cmp_ge_u64_e32 vcc, s[14:15], v[6:7]
	s_addc_u32 s17, s17, 0
	s_cbranch_vccnz .LBB0_9
; %bb.7:                                ;   in Loop: Header=BB0_2 Depth=1
	v_mov_b64_e32 v[6:7], v[8:9]
	s_branch .LBB0_2
.LBB0_8:
	v_mov_b64_e32 v[8:9], v[6:7]
.LBB0_9:
	s_lshl_b64 s[2:3], s[10:11], 3
	s_add_u32 s2, s6, s2
	s_addc_u32 s3, s7, s3
	s_load_dwordx2 s[6:7], s[2:3], 0x0
	s_load_dwordx2 s[10:11], s[0:1], 0x20
                                        ; implicit-def: $vgpr10
                                        ; implicit-def: $vgpr16
                                        ; implicit-def: $vgpr48
                                        ; implicit-def: $vgpr52
                                        ; implicit-def: $vgpr50
                                        ; implicit-def: $vgpr32
                                        ; implicit-def: $vgpr34
                                        ; implicit-def: $vgpr46
                                        ; implicit-def: $vgpr36
                                        ; implicit-def: $vgpr28
                                        ; implicit-def: $vgpr30
                                        ; implicit-def: $vgpr44
                                        ; implicit-def: $vgpr38
                                        ; implicit-def: $vgpr14
                                        ; implicit-def: $vgpr20
                                        ; implicit-def: $vgpr40
                                        ; implicit-def: $vgpr22
                                        ; implicit-def: $vgpr18
                                        ; implicit-def: $vgpr24
                                        ; implicit-def: $vgpr42
                                        ; implicit-def: $vgpr26
	s_waitcnt lgkmcnt(0)
	v_mad_u64_u32 v[2:3], s[0:1], s6, v8, v[2:3]
	v_mul_lo_u32 v1, s6, v9
	v_mul_lo_u32 v4, s7, v8
	s_mov_b32 s0, 0x97b425f
	v_add3_u32 v3, v4, v3, v1
	v_mul_hi_u32 v1, v0, s0
	v_mul_u32_u24_e32 v1, 27, v1
	v_cmp_gt_u64_e32 vcc, s[10:11], v[8:9]
	v_sub_u32_e32 v4, v0, v1
	v_lshl_add_u64 v[6:7], v[2:3], 3, s[4:5]
                                        ; implicit-def: $vgpr0
                                        ; implicit-def: $vgpr2
	s_and_saveexec_b64 s[2:3], vcc
	s_cbranch_execz .LBB0_13
; %bb.10:
	v_mov_b32_e32 v5, 0
	v_lshl_add_u64 v[8:9], v[4:5], 3, v[6:7]
	global_load_dwordx2 v[36:37], v[8:9], off offset:2520
	global_load_dwordx2 v[34:35], v[8:9], off offset:1368
	;; [unrolled: 1-line block ×3, first 2 shown]
	global_load_dwordx2 v[16:17], v[8:9], off
	global_load_dwordx2 v[32:33], v[8:9], off offset:216
	global_load_dwordx2 v[28:29], v[8:9], off offset:432
	;; [unrolled: 1-line block ×11, first 2 shown]
	v_cmp_gt_u32_e64 s[0:1], 9, v4
                                        ; implicit-def: $vgpr3
                                        ; implicit-def: $vgpr11
                                        ; implicit-def: $vgpr1
	s_and_saveexec_b64 s[4:5], s[0:1]
	s_cbranch_execz .LBB0_12
; %bb.11:
	global_load_dwordx2 v[2:3], v[8:9], off offset:1080
	global_load_dwordx2 v[10:11], v[8:9], off offset:2232
	global_load_dwordx2 v[0:1], v[8:9], off offset:3384
.LBB0_12:
	s_or_b64 exec, exec, s[4:5]
	s_waitcnt vmcnt(6)
	v_mov_b32_e32 v52, v49
	s_waitcnt vmcnt(4)
	v_mov_b32_e32 v53, v51
	v_mov_b32_e32 v46, v35
	v_mov_b32_e32 v47, v37
	v_mov_b32_e32 v44, v31
	s_waitcnt vmcnt(2)
	v_mov_b32_e32 v45, v39
	v_mov_b32_e32 v40, v21
	s_waitcnt vmcnt(1)
	v_mov_b32_e32 v41, v23
	v_mov_b32_e32 v42, v25
	s_waitcnt vmcnt(0)
	v_mov_b32_e32 v43, v27
.LBB0_13:
	s_or_b64 exec, exec, s[2:3]
	v_and_b32_e32 v5, 1, v12
	v_cmp_eq_u32_e64 s[0:1], 1, v5
	v_add_f32_e32 v5, v50, v48
	v_mov_b32_e32 v8, 0x1b0
	v_mul_f32_e32 v49, 0.5, v5
	v_add_f32_e32 v5, v36, v34
	v_cndmask_b32_e64 v55, 0, v8, s[0:1]
	v_mul_f32_e32 v35, 0.5, v5
	v_pk_add_f32 v[8:9], v[16:17], v[48:49] op_sel_hi:[0,1] neg_lo:[0,1] neg_hi:[0,1]
	v_sub_f32_e32 v23, v52, v53
	v_sub_f32_e32 v25, v46, v47
	v_mad_u32_u24 v68, v4, 12, 0
	v_pk_add_f32 v[56:57], v[16:17], v[48:49]
	v_pk_add_f32 v[58:59], v[32:33], v[34:35]
	v_pk_add_f32 v[12:13], v[32:33], v[34:35] op_sel_hi:[0,1] neg_lo:[0,1] neg_hi:[0,1]
	v_lshlrev_b32_e32 v5, 2, v55
	v_add_f32_e32 v8, v38, v30
	v_mov_b32_e32 v57, v9
	v_fmac_f32_e32 v9, 0xbf5db3d7, v23
	v_mov_b32_e32 v59, v13
	v_fmac_f32_e32 v13, 0xbf5db3d7, v25
	v_add_u32_e32 v35, v68, v5
	v_mul_f32_e32 v31, 0.5, v8
	v_add_f32_e32 v8, v22, v20
	ds_write2_b32 v35, v9, v13 offset0:2 offset1:83
	v_mul_f32_e32 v21, 0.5, v8
	v_pk_add_f32 v[8:9], v[28:29], v[30:31] op_sel_hi:[0,1] neg_lo:[0,1] neg_hi:[0,1]
	v_pk_add_f32 v[60:61], v[28:29], v[30:31]
	v_sub_f32_e32 v27, v44, v45
	v_pk_add_f32 v[66:67], v[14:15], v[20:21]
	v_pk_add_f32 v[12:13], v[14:15], v[20:21] op_sel_hi:[0,1] neg_lo:[0,1] neg_hi:[0,1]
	v_sub_f32_e32 v21, v40, v41
	v_pk_add_f32 v[64:65], v[0:1], v[10:11]
	v_mov_b32_e32 v8, v2
	v_pk_add_f32 v[62:63], v[10:11], v[0:1] neg_lo:[0,1] neg_hi:[0,1]
	v_mul_f32_e32 v51, 0x3f5db3d7, v23
	v_mov_b32_e32 v61, v9
	v_fmac_f32_e32 v9, 0xbf5db3d7, v27
	v_mov_b32_e32 v67, v13
	v_fmac_f32_e32 v13, 0xbf5db3d7, v21
	v_fmac_f32_e32 v8, -0.5, v64
	v_mul_f32_e32 v54, 0x3f5db3d7, v63
	v_pk_add_f32 v[56:57], v[56:57], v[50:51]
	v_mul_f32_e32 v37, 0x3f5db3d7, v25
	ds_write2_b32 v35, v9, v13 offset0:164 offset1:245
	v_pk_add_f32 v[12:13], v[8:9], v[54:55] op_sel_hi:[0,0]
	v_pk_add_f32 v[8:9], v[8:9], v[54:55] op_sel_hi:[0,0] neg_lo:[0,1] neg_hi:[0,1]
	ds_write2_b32 v35, v56, v57 offset1:1
	v_pk_add_f32 v[56:57], v[58:59], v[36:37]
	v_mul_f32_e32 v39, 0x3f5db3d7, v27
	ds_write2_b32 v35, v56, v57 offset0:81 offset1:82
	v_pk_add_f32 v[56:57], v[60:61], v[38:39]
	v_mul_f32_e32 v23, 0x3f5db3d7, v21
	v_add_f32_e32 v8, v26, v24
	ds_write2_b32 v35, v56, v57 offset0:162 offset1:163
	v_pk_add_f32 v[56:57], v[66:67], v[22:23]
	v_mul_f32_e32 v25, 0.5, v8
	ds_write2_b32 v35, v56, v57 offset0:243 offset1:244
	v_sub_f32_e32 v21, v42, v43
	v_pk_add_f32 v[56:57], v[18:19], v[24:25]
	v_pk_add_f32 v[58:59], v[18:19], v[24:25] op_sel_hi:[0,1] neg_lo:[0,1] neg_hi:[0,1]
	v_mul_f32_e32 v27, 0x3f5db3d7, v21
	v_add_u32_e32 v8, 0x510, v68
	v_mov_b32_e32 v57, v59
	v_pk_add_f32 v[56:57], v[56:57], v[26:27]
	v_add_u32_e32 v13, v8, v5
	v_fmac_f32_e32 v59, 0xbf5db3d7, v21
	v_cmp_lt_u32_e64 s[2:3], 8, v4
	v_cmp_gt_u32_e64 s[0:1], 9, v4
	v_add_u32_e32 v31, 0x144, v35
	v_add_u32_e32 v27, 0x288, v35
	;; [unrolled: 1-line block ×3, first 2 shown]
	v_mov_b32_e32 v54, v53
	v_mov_b32_e32 v70, v47
	v_mov_b32_e32 v68, v45
	v_mov_b32_e32 v66, v41
	v_mov_b32_e32 v64, v43
	ds_write2_b32 v13, v56, v57 offset1:1
	ds_write_b32 v13, v59 offset:8
	s_and_saveexec_b64 s[4:5], s[0:1]
	s_cbranch_execz .LBB0_15
; %bb.14:
	v_add_f32_e32 v10, v10, v2
	v_add_f32_e32 v0, v0, v10
	v_lshl_add_u32 v8, v55, 2, v8
	ds_write_b32 v8, v0 offset:324
	v_mov_b32_e32 v21, v9
	ds_write2_b32 v8, v12, v9 offset0:82 offset1:83
.LBB0_15:
	s_or_b64 exec, exec, s[4:5]
	v_add_f32_e32 v8, v54, v52
	v_sub_f32_e32 v0, v48, v50
	v_mul_f32_e32 v49, 0.5, v8
	v_mov_b32_e32 v48, v52
	v_pk_add_f32 v[48:49], v[16:17], v[48:49] op_sel:[1,0] neg_lo:[0,1] neg_hi:[0,1]
	v_mul_f32_e32 v55, 0x3f5db3d7, v0
	v_pk_add_f32 v[72:73], v[48:49], v[54:55] neg_lo:[0,1] neg_hi:[0,1]
	v_lshlrev_b32_e32 v8, 2, v4
	v_add3_u32 v72, 0, v5, v8
	v_add_u32_e32 v8, 0, v8
	v_pk_add_f32 v[50:51], v[16:17], v[52:53] op_sel:[1,0]
	v_add_u32_e32 v63, v8, v5
	v_pk_add_f32 v[74:75], v[50:51], v[54:55]
	s_waitcnt lgkmcnt(0)
	; wave barrier
	s_waitcnt lgkmcnt(0)
	v_add_u32_e32 v23, 0x200, v63
	v_add_u32_e32 v8, 0x400, v63
	ds_read2_b32 v[60:61], v63 offset0:27 offset1:54
	ds_read2_b32 v[58:59], v63 offset0:81 offset1:108
	;; [unrolled: 1-line block ×7, first 2 shown]
	ds_read_b32 v48, v72
	ds_read_b32 v21, v63 offset:1620
	v_sub_f32_e32 v10, v34, v36
	v_add_f32_e32 v34, v70, v46
	v_mul_f32_e32 v37, 0.5, v34
	v_mov_b32_e32 v36, v46
	v_pk_add_f32 v[46:47], v[32:33], v[46:47] op_sel:[1,0]
	v_pk_add_f32 v[32:33], v[32:33], v[36:37] op_sel:[1,0] neg_lo:[0,1] neg_hi:[0,1]
	v_mul_f32_e32 v71, 0x3f5db3d7, v10
	v_pk_add_f32 v[36:37], v[46:47], v[70:71]
	v_pk_add_f32 v[46:47], v[32:33], v[70:71] neg_lo:[0,1] neg_hi:[0,1]
	v_add_f32_e32 v32, v68, v44
	s_waitcnt lgkmcnt(0)
	; wave barrier
	s_waitcnt lgkmcnt(0)
	ds_write2_b32 v31, v36, v47 offset1:1
	v_sub_f32_e32 v30, v30, v38
	v_mul_f32_e32 v37, 0.5, v32
	v_mov_b32_e32 v36, v44
	v_pk_add_f32 v[38:39], v[28:29], v[44:45] op_sel:[1,0]
	v_pk_add_f32 v[28:29], v[28:29], v[36:37] op_sel:[1,0] neg_lo:[0,1] neg_hi:[0,1]
	v_mul_f32_e32 v69, 0x3f5db3d7, v30
	v_fmac_f32_e32 v49, 0x3f5db3d7, v0
	v_add_f32_e32 v0, v66, v40
	ds_write2_b32 v35, v74, v73 offset1:1
	v_pk_add_f32 v[36:37], v[38:39], v[68:69]
	v_pk_add_f32 v[38:39], v[28:29], v[68:69] neg_lo:[0,1] neg_hi:[0,1]
	ds_write_b32 v35, v49 offset:8
	v_mul_f32_e32 v35, 0.5, v0
	v_mov_b32_e32 v34, v40
	v_add_f32_e32 v0, v64, v42
	ds_write2_b32 v27, v36, v39 offset1:1
	v_pk_add_f32 v[36:37], v[14:15], v[40:41] op_sel:[1,0]
	v_pk_add_f32 v[34:35], v[14:15], v[34:35] op_sel:[1,0] neg_lo:[0,1] neg_hi:[0,1]
	v_mul_f32_e32 v15, 0.5, v0
	v_mov_b32_e32 v14, v42
	v_pk_add_f32 v[40:41], v[18:19], v[14:15] op_sel:[1,0] neg_lo:[0,1] neg_hi:[0,1]
	v_mul_f32_e32 v15, 0.5, v65
	v_mov_b32_e32 v14, v11
	v_pk_add_f32 v[38:39], v[18:19], v[42:43] op_sel:[1,0]
	v_pk_add_f32 v[18:19], v[2:3], v[14:15] op_sel:[1,0]
	v_pk_add_f32 v[14:15], v[2:3], v[14:15] op_sel:[1,0] neg_lo:[0,1] neg_hi:[0,1]
	v_sub_f32_e32 v20, v20, v22
	v_sub_f32_e32 v22, v24, v26
	v_mov_b32_e32 v19, v15
	v_mov_b32_e32 v0, v1
	v_mul_f32_e32 v1, 0x3f5db3d7, v62
	v_fmac_f32_e32 v33, 0x3f5db3d7, v10
	v_fmac_f32_e32 v29, 0x3f5db3d7, v30
	v_mul_f32_e32 v67, 0x3f5db3d7, v20
	v_mul_f32_e32 v65, 0x3f5db3d7, v22
	v_fmac_f32_e32 v15, 0x3f5db3d7, v62
	v_pk_add_f32 v[10:11], v[18:19], v[0:1] neg_lo:[0,1] neg_hi:[0,1]
	v_add_u32_e32 v44, 0x87, v4
	v_pk_add_f32 v[2:3], v[36:37], v[66:67]
	v_pk_add_f32 v[36:37], v[34:35], v[66:67] neg_lo:[0,1] neg_hi:[0,1]
	v_fmac_f32_e32 v35, 0x3f5db3d7, v20
	v_pk_add_f32 v[38:39], v[38:39], v[64:65]
	v_pk_add_f32 v[42:43], v[40:41], v[64:65] neg_lo:[0,1] neg_hi:[0,1]
	v_fmac_f32_e32 v41, 0x3f5db3d7, v22
	ds_write_b32 v31, v33 offset:8
	ds_write_b32 v27, v29 offset:8
	ds_write2_b32 v25, v2, v37 offset1:1
	ds_write_b32 v25, v35 offset:8
	ds_write2_b32 v13, v38, v43 offset1:1
	ds_write_b32 v13, v41 offset:8
	s_and_saveexec_b64 s[4:5], s[0:1]
	s_cbranch_execz .LBB0_17
; %bb.16:
	v_pk_add_f32 v[0:1], v[18:19], v[0:1]
	s_nop 0
	v_mul_u32_u24_e32 v1, 12, v44
	v_add3_u32 v2, 0, v1, v5
	ds_write2_b32 v2, v0, v11 offset1:1
	ds_write_b32 v2, v15 offset:8
.LBB0_17:
	s_or_b64 exec, exec, s[4:5]
	s_movk_i32 s4, 0xab
	v_mul_lo_u16_sdwa v0, v4, s4 dst_sel:DWORD dst_unused:UNUSED_PAD src0_sel:BYTE_0 src1_sel:DWORD
	v_lshrrev_b16_e32 v14, 9, v0
	v_mul_lo_u16_e32 v0, 3, v14
	v_sub_u16_e32 v22, v4, v0
	v_mov_b32_e32 v0, 15
	v_mul_u32_u24_sdwa v0, v22, v0 dst_sel:DWORD dst_unused:UNUSED_PAD src0_sel:BYTE_0 src1_sel:DWORD
	v_lshlrev_b32_e32 v10, 3, v0
	s_waitcnt lgkmcnt(0)
	; wave barrier
	s_waitcnt lgkmcnt(0)
	global_load_dwordx4 v[24:27], v10, s[8:9]
	global_load_dwordx4 v[28:31], v10, s[8:9] offset:16
	global_load_dwordx4 v[32:35], v10, s[8:9] offset:32
	;; [unrolled: 1-line block ×3, first 2 shown]
	ds_read2_b32 v[18:19], v63 offset0:27 offset1:54
	ds_read2_b32 v[38:39], v63 offset0:81 offset1:108
	;; [unrolled: 1-line block ×3, first 2 shown]
	v_mov_b32_e32 v37, v58
	v_mov_b32_e32 v43, v56
	;; [unrolled: 1-line block ×3, first 2 shown]
	s_waitcnt lgkmcnt(2)
	v_mov_b32_e32 v64, v19
	s_waitcnt lgkmcnt(1)
	v_mov_b32_e32 v65, v38
	v_mov_b32_e32 v36, v19
	;; [unrolled: 1-line block ×3, first 2 shown]
	s_waitcnt lgkmcnt(0)
	v_mov_b32_e32 v46, v41
	s_mov_b32 s4, 0x3f3504f3
	v_mul_u32_u24_e32 v14, 48, v14
	v_or_b32_sdwa v14, v14, v22 dst_sel:DWORD dst_unused:UNUSED_PAD src0_sel:DWORD src1_sel:BYTE_0
	v_lshlrev_b32_e32 v14, 2, v14
	s_waitcnt vmcnt(3)
	v_mov_b32_e32 v66, v27
	s_waitcnt vmcnt(2)
	v_mov_b32_e32 v67, v28
	v_mov_b32_e32 v68, v31
	s_waitcnt vmcnt(1)
	v_mov_b32_e32 v70, v35
	s_waitcnt vmcnt(0)
	v_mov_b32_e32 v71, v0
	v_mul_f32_e32 v13, v18, v25
	v_mul_f32_e32 v20, v60, v25
	;; [unrolled: 1-line block ×3, first 2 shown]
	v_mov_b32_e32 v19, v28
	v_mov_b32_e32 v28, v27
	;; [unrolled: 1-line block ×3, first 2 shown]
	v_mul_f32_e32 v39, v39, v31
	v_mov_b32_e32 v31, v33
	v_mov_b32_e32 v75, v0
	;; [unrolled: 1-line block ×5, first 2 shown]
	v_fmac_f32_e32 v20, v18, v24
	v_mov_b32_e32 v18, v26
	v_fma_f32 v49, v60, v24, -v13
	v_pk_mul_f32 v[26:27], v[36:37], v[26:27]
	v_mov_b32_e32 v74, v34
	v_pk_mul_f32 v[24:25], v[64:65], v[28:29]
	v_fma_f32 v13, v59, v30, -v39
	v_fma_f32 v45, v56, v32, -v45
	v_pk_mul_f32 v[28:29], v[42:43], v[30:31]
	v_pk_mul_f32 v[42:43], v[46:47], v[34:35]
	global_load_dwordx4 v[30:33], v10, s[8:9] offset:80
	global_load_dwordx4 v[34:37], v10, s[8:9] offset:64
	v_mov_b32_e32 v46, v61
	v_mov_b32_e32 v47, v58
	v_pk_fma_f32 v[18:19], v[46:47], v[18:19], v[24:25] neg_lo:[0,0,1] neg_hi:[0,0,1]
	ds_read2_b32 v[24:25], v63 offset0:189 offset1:216
	ds_read2_b32 v[46:47], v23 offset0:115 offset1:142
	;; [unrolled: 1-line block ×3, first 2 shown]
	v_mov_b32_e32 v60, v61
	v_mov_b32_e32 v61, v38
	;; [unrolled: 1-line block ×5, first 2 shown]
	v_pk_fma_f32 v[28:29], v[38:39], v[68:69], v[28:29]
	v_mov_b32_e32 v38, v41
	s_waitcnt lgkmcnt(2)
	v_mov_b32_e32 v39, v24
	v_mov_b32_e32 v40, v25
	s_waitcnt lgkmcnt(1)
	v_mov_b32_e32 v41, v46
	v_pk_mul_f32 v[0:1], v[38:39], v[0:1]
	v_pk_fma_f32 v[26:27], v[60:61], v[66:67], v[26:27]
	v_mov_b32_e32 v58, v57
	v_mov_b32_e32 v56, v57
	;; [unrolled: 1-line block ×6, first 2 shown]
	v_pk_fma_f32 v[0:1], v[58:59], v[74:75], v[0:1] neg_lo:[0,0,1] neg_hi:[0,0,1]
	v_pk_fma_f32 v[42:43], v[56:57], v[70:71], v[42:43]
	v_mov_b32_e32 v66, v55
	v_mov_b32_e32 v67, v52
	s_waitcnt vmcnt(1)
	v_mov_b32_e32 v59, v30
	s_waitcnt vmcnt(0)
	v_mul_f32_e32 v16, v54, v35
	v_mov_b32_e32 v39, v34
	v_fmac_f32_e32 v16, v46, v34
	v_mov_b32_e32 v34, v3
	v_pk_mul_f32 v[34:35], v[40:41], v[34:35]
	v_mov_b32_e32 v57, v30
	v_pk_fma_f32 v[34:35], v[60:61], v[38:39], v[34:35] neg_lo:[0,0,1] neg_hi:[0,0,1]
	v_mov_b32_e32 v60, v47
	s_waitcnt lgkmcnt(0)
	v_mov_b32_e32 v61, v64
	v_mov_b32_e32 v30, v37
	;; [unrolled: 1-line block ×3, first 2 shown]
	global_load_dwordx4 v[38:41], v10, s[8:9] offset:96
	v_pk_mul_f32 v[60:61], v[60:61], v[30:31]
	v_mov_b32_e32 v58, v37
	v_pk_fma_f32 v[56:57], v[66:67], v[56:57], v[60:61] neg_lo:[0,0,1] neg_hi:[0,0,1]
	global_load_dwordx2 v[60:61], v10, s[8:9] offset:112
	ds_read_b32 v10, v72
	ds_read2_b32 v[66:67], v8 offset0:95 offset1:122
	v_mov_b32_e32 v46, v47
	v_mov_b32_e32 v47, v52
	;; [unrolled: 1-line block ×3, first 2 shown]
	v_pk_mul_f32 v[30:31], v[46:47], v[36:37]
	ds_read_b32 v37, v63 offset:1620
	v_mov_b32_e32 v54, v55
	v_mov_b32_e32 v55, v64
	;; [unrolled: 1-line block ×3, first 2 shown]
	v_pk_fma_f32 v[54:55], v[54:55], v[58:59], v[30:31]
	v_sub_f32_e32 v62, v20, v16
	v_mul_f32_e32 v16, v65, v33
	v_mov_b32_e32 v58, v65
	v_mov_b32_e32 v59, v50
	v_fma_f32 v16, v53, v32, -v16
	v_mov_b32_e32 v52, v53
	s_waitcnt lgkmcnt(1)
	v_mov_b32_e32 v53, v66
	v_mov_b32_e32 v36, v67
	v_fma_f32 v64, v20, 2.0, -v62
	v_mov_b32_e32 v20, v51
	v_pk_add_f32 v[34:35], v[48:49], v[34:35] neg_lo:[0,1] neg_hi:[0,1]
	v_sub_f32_e32 v16, v13, v16
	v_fma_f32 v13, v13, 2.0, -v16
	s_waitcnt lgkmcnt(0)
	; wave barrier
	s_waitcnt vmcnt(1) lgkmcnt(0)
	v_mov_b32_e32 v33, v39
	v_mov_b32_e32 v47, v38
	v_mul_f32_e32 v24, v66, v39
	v_pk_mul_f32 v[32:33], v[58:59], v[32:33]
	s_waitcnt vmcnt(0)
	v_mov_b32_e32 v31, v60
	v_mov_b32_e32 v39, v60
	;; [unrolled: 1-line block ×3, first 2 shown]
	v_fma_f32 v68, v50, v38, -v24
	v_pk_fma_f32 v[32:33], v[52:53], v[46:47], v[32:33]
	v_mov_b32_e32 v38, v40
	v_pk_mul_f32 v[46:47], v[36:37], v[60:61]
	v_mov_b32_e32 v30, v41
	v_pk_fma_f32 v[38:39], v[20:21], v[38:39], v[46:47] neg_lo:[0,0,1] neg_hi:[0,0,1]
	v_mov_b32_e32 v20, v67
	v_mov_b32_e32 v41, v61
	;; [unrolled: 1-line block ×3, first 2 shown]
	v_pk_mul_f32 v[20:21], v[20:21], v[40:41]
	v_pk_add_f32 v[38:39], v[0:1], v[38:39] neg_lo:[0,1] neg_hi:[0,1]
	v_pk_fma_f32 v[20:21], v[36:37], v[30:31], v[20:21]
	v_pk_add_f32 v[30:31], v[28:29], v[32:33] neg_lo:[0,1] neg_hi:[0,1]
	v_pk_add_f32 v[32:33], v[18:19], v[56:57] neg_lo:[0,1] neg_hi:[0,1]
	;; [unrolled: 1-line block ×3, first 2 shown]
	v_fma_f32 v40, v48, 2.0, -v34
	v_fma_f32 v18, v18, 2.0, -v32
	;; [unrolled: 1-line block ×4, first 2 shown]
	v_sub_f32_e32 v47, v45, v68
	v_pk_add_f32 v[20:21], v[42:43], v[20:21] neg_lo:[0,1] neg_hi:[0,1]
	v_fma_f32 v46, v49, 2.0, -v35
	v_fma_f32 v45, v45, 2.0, -v47
	;; [unrolled: 1-line block ×5, first 2 shown]
	v_sub_f32_e32 v13, v40, v13
	v_sub_f32_e32 v29, v18, v26
	v_fma_f32 v27, v27, 2.0, -v37
	v_fma_f32 v43, v43, 2.0, -v21
	;; [unrolled: 1-line block ×3, first 2 shown]
	v_pk_add_f32 v[0:1], v[34:35], v[30:31] neg_lo:[0,1] neg_hi:[0,1]
	v_fma_f32 v26, v18, 2.0, -v29
	v_pk_add_f32 v[18:19], v[32:33], v[20:21] neg_lo:[0,1] neg_hi:[0,1]
	v_sub_f32_e32 v52, v46, v45
	v_sub_f32_e32 v55, v49, v50
	v_fma_f32 v41, v42, 2.0, -v20
	v_fma_f32 v34, v34, 2.0, -v0
	;; [unrolled: 1-line block ×3, first 2 shown]
	v_pk_add_f32 v[20:21], v[36:37], v[38:39]
	v_fma_f32 v46, v46, 2.0, -v52
	v_add_f32_e32 v54, v62, v47
	v_fma_f32 v35, v35, 2.0, -v1
	v_sub_f32_e32 v56, v27, v43
	v_fma_f32 v43, v49, 2.0, -v55
	v_fma_f32 v50, v33, 2.0, -v19
	v_sub_f32_e32 v26, v40, v26
	v_sub_f32_e32 v42, v24, v41
	v_fma_f32 v36, v36, 2.0, -v20
	v_fma_f32 v51, v62, 2.0, -v54
	;; [unrolled: 1-line block ×4, first 2 shown]
	v_fmamk_f32 v58, v32, 0xbf3504f3, v34
	v_pk_mul_f32 v[40:41], v[18:19], s[4:5] op_sel_hi:[1,0]
	v_pk_fma_f32 v[18:19], v[18:19], s[4:5], v[0:1] op_sel_hi:[1,0,1]
	v_sub_f32_e32 v45, v46, v43
	v_fmamk_f32 v43, v50, 0xbf3504f3, v35
	v_sub_f32_e32 v53, v64, v48
	v_fma_f32 v27, v27, 2.0, -v56
	v_mul_f32_e32 v47, 0x3f3504f3, v32
	v_mul_f32_e32 v48, 0x3f3504f3, v36
	v_fmac_f32_e32 v58, 0xbf3504f3, v36
	v_sub_f32_e32 v36, v13, v42
	v_pk_mul_f32 v[38:39], v[20:21], s[4:5] op_sel_hi:[1,0]
	v_pk_fma_f32 v[32:33], v[20:21], s[4:5], v[18:19] op_sel_hi:[1,0,1] neg_lo:[1,0,0] neg_hi:[1,0,0]
	v_fma_f32 v18, v46, 2.0, -v45
	v_fmamk_f32 v46, v37, 0xbf3504f3, v51
	v_fmac_f32_e32 v43, 0xbf3504f3, v37
	v_sub_f32_e32 v56, v52, v56
	v_fma_f32 v34, v34, 2.0, -v58
	v_fma_f32 v13, v13, 2.0, -v36
	v_fmac_f32_e32 v46, 0x3f3504f3, v50
	v_fma_f32 v50, v35, 2.0, -v43
	v_add_f32_e32 v59, v53, v55
	v_fma_f32 v55, v52, 2.0, -v56
	v_add_f32_e32 v19, v54, v39
	v_fma_f32 v31, v64, 2.0, -v53
	v_fma_f32 v51, v51, 2.0, -v46
	;; [unrolled: 1-line block ×3, first 2 shown]
	v_add_f32_e32 v39, v41, v19
	v_fmamk_f32 v19, v50, 0xbf6c835e, v34
	v_fmamk_f32 v21, v55, 0xbf3504f3, v13
	v_fma_f32 v0, v0, 2.0, -v32
	v_fma_f32 v41, v1, 2.0, -v33
	v_sub_f32_e32 v1, v57, v18
	v_fmac_f32_e32 v19, 0xbec3ef15, v51
	v_fmac_f32_e32 v21, 0xbf3504f3, v53
	v_sub_f32_e32 v49, v31, v27
	v_fma_f32 v52, v54, 2.0, -v39
	v_fma_f32 v18, v57, 2.0, -v1
	;; [unrolled: 1-line block ×4, first 2 shown]
	v_fmamk_f32 v34, v41, 0xbec3ef15, v0
	v_fmamk_f32 v37, v43, 0x3ec3ef15, v58
	;; [unrolled: 1-line block ×4, first 2 shown]
	v_fmac_f32_e32 v34, 0xbf6c835e, v52
	v_sub_f32_e32 v35, v26, v49
	v_fmac_f32_e32 v37, 0xbf6c835e, v46
	v_fmac_f32_e32 v57, 0xbf3504f3, v59
	;; [unrolled: 1-line block ×3, first 2 shown]
	v_fma_f32 v0, v0, 2.0, -v34
	v_fma_f32 v26, v26, 2.0, -v35
	;; [unrolled: 1-line block ×5, first 2 shown]
	v_add3_u32 v32, 0, v14, v5
	ds_write2_b32 v32, v18, v20 offset1:3
	ds_write2_b32 v32, v27, v0 offset0:6 offset1:9
	ds_write2_b32 v32, v26, v54 offset0:12 offset1:15
	;; [unrolled: 1-line block ×7, first 2 shown]
	s_waitcnt lgkmcnt(0)
	; wave barrier
	s_waitcnt lgkmcnt(0)
	ds_read_b32 v14, v72
	ds_read2_b32 v[36:37], v63 offset0:144 offset1:171
	ds_read2_b32 v[0:1], v23 offset0:124 offset1:160
	;; [unrolled: 1-line block ×7, first 2 shown]
	v_mul_f32_e32 v54, 0x3f3504f3, v55
	v_mul_f32_e32 v55, 0x3f3504f3, v53
	;; [unrolled: 1-line block ×4, first 2 shown]
	s_and_saveexec_b64 s[4:5], s[0:1]
	s_cbranch_execz .LBB0_19
; %bb.18:
	v_add_u32_e32 v9, 0x200, v63
	ds_read2_b32 v[56:57], v9 offset0:7 offset1:151
	ds_read_b32 v9, v63 offset:1692
	s_waitcnt lgkmcnt(1)
	v_mov_b32_e32 v12, v57
	v_mov_b32_e32 v13, v56
.LBB0_19:
	s_or_b64 exec, exec, s[4:5]
	v_mul_f32_e32 v3, v17, v3
	v_fmac_f32_e32 v3, v25, v2
	v_sub_f32_e32 v2, v10, v3
	v_fma_f32 v3, v10, 2.0, -v2
	v_fma_f32 v10, v28, 2.0, -v30
	v_sub_f32_e32 v10, v3, v10
	v_add_f32_e32 v16, v2, v16
	v_fma_f32 v2, v2, 2.0, -v16
	v_add_f32_e32 v25, v10, v29
	v_fma_f32 v3, v3, 2.0, -v10
	v_fma_f32 v17, v24, 2.0, -v42
	v_sub_f32_e32 v24, v2, v48
	v_fma_f32 v10, v10, 2.0, -v25
	v_add_f32_e32 v28, v16, v38
	v_add_f32_e32 v24, v47, v24
	;; [unrolled: 1-line block ×3, first 2 shown]
	v_fma_f32 v29, v31, 2.0, -v49
	v_sub_f32_e32 v31, v10, v55
	v_sub_f32_e32 v17, v3, v17
	v_fma_f32 v2, v2, 2.0, -v24
	v_fma_f32 v16, v16, 2.0, -v28
	v_add_f32_e32 v31, v54, v31
	v_fma_f32 v3, v3, 2.0, -v17
	v_fmamk_f32 v30, v51, 0xbf6c835e, v2
	v_fma_f32 v38, v10, 2.0, -v31
	v_fmamk_f32 v40, v52, 0xbec3ef15, v16
	v_add_f32_e32 v10, v25, v53
	v_sub_f32_e32 v29, v3, v29
	v_fmac_f32_e32 v30, 0x3ec3ef15, v50
	v_fmac_f32_e32 v40, 0x3f6c835e, v41
	v_fmamk_f32 v42, v46, 0x3ec3ef15, v24
	v_add_f32_e32 v8, v8, v10
	v_fmamk_f32 v10, v39, 0x3f6c835e, v28
	v_fma_f32 v3, v3, 2.0, -v29
	v_fma_f32 v2, v2, 2.0, -v30
	;; [unrolled: 1-line block ×3, first 2 shown]
	v_add_f32_e32 v41, v17, v45
	v_fmac_f32_e32 v42, 0x3f6c835e, v43
	v_fmac_f32_e32 v10, 0x3ec3ef15, v33
	v_fma_f32 v17, v17, 2.0, -v41
	v_fma_f32 v24, v24, 2.0, -v42
	;; [unrolled: 1-line block ×4, first 2 shown]
	s_waitcnt lgkmcnt(0)
	; wave barrier
	s_waitcnt lgkmcnt(0)
	ds_write2_b32 v32, v3, v2 offset1:3
	ds_write2_b32 v32, v38, v16 offset0:6 offset1:9
	ds_write2_b32 v32, v17, v24 offset0:12 offset1:15
	;; [unrolled: 1-line block ×7, first 2 shown]
	v_add_u32_e32 v8, 0x200, v63
	v_add_u32_e32 v16, 0x400, v63
	s_waitcnt lgkmcnt(0)
	; wave barrier
	s_waitcnt lgkmcnt(0)
	ds_read_b32 v42, v72
	ds_read2_b32 v[40:41], v63 offset0:144 offset1:171
	ds_read2_b32 v[2:3], v8 offset0:124 offset1:160
	ds_read2_b32 v[32:33], v63 offset0:27 offset1:54
	ds_read2_b32 v[38:39], v16 offset0:59 offset1:86
	ds_read2_b32 v[28:29], v63 offset0:198 offset1:225
	ds_read2_b32 v[30:31], v63 offset0:81 offset1:108
	ds_read2_b32 v[24:25], v16 offset0:113 offset1:140
	s_and_saveexec_b64 s[4:5], s[0:1]
	s_cbranch_execz .LBB0_21
; %bb.20:
	ds_read2_b32 v[10:11], v8 offset0:7 offset1:151
	ds_read_b32 v15, v63 offset:1692
.LBB0_21:
	s_or_b64 exec, exec, s[4:5]
	v_lshlrev_b32_e32 v48, 1, v4
	v_mov_b32_e32 v49, 0
	v_lshl_add_u64 v[16:17], v[48:49], 3, s[8:9]
	global_load_dwordx4 v[54:57], v[16:17], off offset:360
	v_add_u32_e32 v46, 27, v4
	v_subrev_u32_e32 v8, 21, v4
	v_cmp_gt_u32_e64 s[4:5], 21, v4
	v_mov_b32_e32 v51, v49
	v_add_u32_e32 v48, 12, v48
	v_cndmask_b32_e64 v73, v8, v46, s[4:5]
	v_lshlrev_b32_e32 v50, 1, v73
	v_add_u32_e32 v47, 0x51, v4
	s_movk_i32 s4, 0xab
	v_lshl_add_u64 v[50:51], v[50:51], 3, s[8:9]
	v_lshl_add_u64 v[48:49], v[48:49], 3, s[8:9]
	v_add_u32_e32 v45, 0x6c, v4
	v_mul_lo_u16_sdwa v43, v47, s4 dst_sel:DWORD dst_unused:UNUSED_PAD src0_sel:BYTE_0 src1_sel:DWORD
	global_load_dwordx4 v[58:61], v[50:51], off offset:360
	global_load_dwordx4 v[64:67], v[48:49], off offset:360
	v_mul_lo_u16_sdwa v48, v45, s4 dst_sel:DWORD dst_unused:UNUSED_PAD src0_sel:BYTE_0 src1_sel:DWORD
	v_mul_lo_u16_sdwa v49, v44, s4 dst_sel:DWORD dst_unused:UNUSED_PAD src0_sel:BYTE_0 src1_sel:DWORD
	v_lshrrev_b16_e32 v82, 13, v43
	v_lshrrev_b16_e32 v43, 13, v48
	;; [unrolled: 1-line block ×3, first 2 shown]
	v_mul_lo_u16_e32 v49, 48, v82
	v_mov_b32_e32 v8, 4
	v_sub_u16_e32 v83, v47, v49
	v_mul_lo_u16_e32 v43, 48, v43
	v_lshlrev_b32_sdwa v53, v8, v83 dst_sel:DWORD dst_unused:UNUSED_PAD src0_sel:DWORD src1_sel:BYTE_0
	v_mul_lo_u16_e32 v48, 48, v48
	v_sub_u16_e32 v84, v45, v43
	global_load_dwordx4 v[68:71], v53, s[8:9] offset:360
	v_sub_u16_e32 v43, v44, v48
	v_cmp_lt_u32_e64 s[4:5], 20, v4
	s_movk_i32 s6, 0x240
	s_waitcnt vmcnt(3) lgkmcnt(5)
	v_mul_f32_e32 v50, v3, v57
	v_mul_f32_e32 v52, v1, v57
	v_fma_f32 v51, v1, v56, -v50
	v_lshlrev_b32_sdwa v1, v8, v84 dst_sel:DWORD dst_unused:UNUSED_PAD src0_sel:DWORD src1_sel:BYTE_0
	v_fmac_f32_e32 v52, v3, v56
	v_lshlrev_b32_sdwa v3, v8, v43 dst_sel:DWORD dst_unused:UNUSED_PAD src0_sel:DWORD src1_sel:BYTE_0
	global_load_dwordx4 v[74:77], v1, s[8:9] offset:360
	global_load_dwordx4 v[78:81], v3, s[8:9] offset:360
	v_mul_f32_e32 v48, v40, v55
	v_mul_f32_e32 v49, v36, v55
	v_fma_f32 v48, v36, v54, -v48
	v_fmac_f32_e32 v49, v40, v54
	v_add_f32_e32 v1, v14, v48
	v_add_f32_e32 v3, v48, v51
	s_waitcnt vmcnt(4)
	v_mul_f32_e32 v8, v41, v59
	v_mul_f32_e32 v50, v37, v59
	v_fma_f32 v40, v37, v58, -v8
	s_waitcnt lgkmcnt(3)
	v_mul_f32_e32 v8, v38, v61
	v_fmac_f32_e32 v50, v41, v58
	v_fma_f32 v53, v34, v60, -v8
	s_waitcnt vmcnt(3) lgkmcnt(2)
	v_mul_f32_e32 v8, v28, v65
	v_mul_f32_e32 v41, v35, v67
	v_mul_f32_e32 v54, v34, v61
	v_mul_f32_e32 v34, v39, v67
	v_fmac_f32_e32 v41, v39, v66
	v_mul_f32_e32 v55, v26, v65
	v_fma_f32 v39, v26, v64, -v8
	v_add_f32_e32 v26, v1, v51
	s_waitcnt vmcnt(2)
	v_mul_f32_e32 v1, v29, v69
	v_fma_f32 v56, v27, v68, -v1
	s_waitcnt lgkmcnt(0)
	v_mul_f32_e32 v1, v24, v71
	v_fmac_f32_e32 v54, v38, v60
	v_fma_f32 v60, v22, v70, -v1
	v_fmac_f32_e32 v55, v28, v64
	v_fmac_f32_e32 v14, -0.5, v3
	v_fma_f32 v38, v35, v66, -v34
	v_mul_f32_e32 v61, v22, v71
	v_mul_f32_e32 v58, v27, v69
	v_fmac_f32_e32 v58, v29, v68
	v_fmac_f32_e32 v61, v24, v70
	s_waitcnt lgkmcnt(0)
	; wave barrier
	s_waitcnt vmcnt(1)
	v_mul_f32_e32 v1, v25, v77
	s_waitcnt vmcnt(0)
	v_mul_f32_e32 v36, v12, v79
	v_fma_f32 v64, v23, v76, -v1
	v_sub_f32_e32 v1, v49, v52
	v_mul_f32_e32 v3, v2, v75
	v_mul_f32_e32 v35, v11, v79
	;; [unrolled: 1-line block ×3, first 2 shown]
	v_fmac_f32_e32 v36, v11, v78
	v_fmamk_f32 v11, v1, 0x3f5db3d7, v14
	v_fmac_f32_e32 v14, 0xbf5db3d7, v1
	v_add_f32_e32 v1, v20, v40
	v_mul_f32_e32 v57, v0, v75
	v_fma_f32 v59, v0, v74, -v3
	v_mul_f32_e32 v0, v15, v81
	v_fmac_f32_e32 v34, v15, v80
	v_add_f32_e32 v15, v1, v53
	v_add_f32_e32 v1, v40, v53
	v_fma_f32 v20, -0.5, v1, v20
	v_sub_f32_e32 v1, v50, v54
	v_fmamk_f32 v22, v1, 0x3f5db3d7, v20
	v_fmac_f32_e32 v20, 0xbf5db3d7, v1
	v_add_f32_e32 v1, v21, v39
	v_mul_f32_e32 v62, v23, v77
	v_add_f32_e32 v23, v1, v38
	v_add_f32_e32 v1, v39, v38
	v_fmac_f32_e32 v21, -0.5, v1
	v_sub_f32_e32 v1, v55, v41
	v_fmamk_f32 v27, v1, 0x3f5db3d7, v21
	v_fmac_f32_e32 v21, 0xbf5db3d7, v1
	v_add_f32_e32 v1, v18, v56
	v_add_f32_e32 v28, v1, v60
	;; [unrolled: 1-line block ×3, first 2 shown]
	v_fma_f32 v18, -0.5, v1, v18
	v_sub_f32_e32 v1, v58, v61
	v_fmamk_f32 v29, v1, 0x3f5db3d7, v18
	v_fmac_f32_e32 v18, 0xbf5db3d7, v1
	v_add_f32_e32 v1, v19, v59
	v_mul_f32_e32 v37, v12, v78
	v_fmac_f32_e32 v57, v2, v74
	v_fmac_f32_e32 v62, v25, v76
	v_add_f32_e32 v67, v1, v64
	v_add_f32_e32 v1, v59, v64
	v_fmac_f32_e32 v19, -0.5, v1
	v_sub_f32_e32 v1, v57, v62
	v_pk_add_f32 v[24:25], v[36:37], v[34:35] neg_lo:[0,1] neg_hi:[0,1]
	v_mov_b32_e32 v12, 0x3f5db3d7
	v_fmamk_f32 v68, v1, 0x3f5db3d7, v19
	v_fmac_f32_e32 v19, 0xbf5db3d7, v1
	v_fma_f32 v3, v9, v80, -v0
	v_pk_add_f32 v[0:1], v[12:13], v[24:25]
	v_pk_mul_f32 v[8:9], v[12:13], v[24:25]
	v_add_f32_e32 v0, v25, v3
	v_fmac_f32_e32 v13, -0.5, v0
	v_mov_b32_e32 v9, v1
	v_mov_b32_e32 v2, v13
	v_pk_add_f32 v[0:1], v[8:9], v[2:3]
	v_mov_b32_e32 v2, 0x240
	v_cndmask_b32_e64 v2, 0, v2, s[4:5]
	v_add_u32_e32 v2, 0, v2
	v_lshlrev_b32_e32 v9, 2, v73
	v_add3_u32 v35, v2, v9, v5
	v_mov_b32_e32 v9, 2
	ds_write2_b32 v63, v26, v11 offset1:48
	ds_write_b32 v63, v14 offset:384
	v_mad_u32_u24 v2, v82, s6, 0
	v_lshlrev_b32_sdwa v11, v9, v83 dst_sel:DWORD dst_unused:UNUSED_PAD src0_sel:DWORD src1_sel:BYTE_0
	v_add3_u32 v65, v2, v11, v5
	v_lshlrev_b32_sdwa v2, v9, v84 dst_sel:DWORD dst_unused:UNUSED_PAD src0_sel:DWORD src1_sel:BYTE_0
	v_add3_u32 v66, 0, v2, v5
	v_add_u32_e32 v2, 0x400, v66
	ds_write2_b32 v35, v15, v22 offset1:48
	ds_write_b32 v35, v20 offset:384
	ds_write2_b32 v63, v23, v27 offset0:150 offset1:198
	ds_write_b32 v63, v21 offset:984
	ds_write2_b32 v65, v28, v29 offset1:48
	ds_write_b32 v65, v18 offset:384
	ds_write2_b32 v2, v67, v68 offset0:32 offset1:80
	ds_write_b32 v66, v19 offset:1536
	s_and_saveexec_b64 s[4:5], s[2:3]
	s_xor_b64 s[4:5], exec, s[4:5]
	s_or_saveexec_b64 s[4:5], s[4:5]
	v_sub_f32_e32 v2, v13, v8
	s_xor_b64 exec, exec, s[4:5]
	s_cbranch_execz .LBB0_23
; %bb.22:
	v_mov_b32_e32 v8, 2
	v_lshlrev_b32_sdwa v8, v8, v43 dst_sel:DWORD dst_unused:UNUSED_PAD src0_sel:DWORD src1_sel:BYTE_0
	v_add3_u32 v8, 0, v8, v5
	v_add_u32_e32 v9, 0x400, v8
	ds_write2_b32 v9, v1, v0 offset0:32 offset1:80
	ds_write_b32 v8, v2 offset:1536
.LBB0_23:
	s_or_b64 exec, exec, s[4:5]
	v_add_u32_e32 v8, 0x200, v63
	v_add_u32_e32 v11, 0x400, v63
	s_waitcnt lgkmcnt(0)
	; wave barrier
	s_waitcnt lgkmcnt(0)
	ds_read_b32 v24, v72
	ds_read2_b32 v[28:29], v63 offset0:144 offset1:171
	ds_read2_b32 v[8:9], v8 offset0:124 offset1:160
	;; [unrolled: 1-line block ×7, first 2 shown]
	s_and_saveexec_b64 s[4:5], s[2:3]
	s_xor_b64 s[4:5], exec, s[4:5]
	s_or_saveexec_b64 s[4:5], s[4:5]
	v_add_u32_e32 v67, 24, v63
	v_add_u32_e32 v68, 0x300, v63
	s_xor_b64 exec, exec, s[4:5]
	s_cbranch_execz .LBB0_25
; %bb.24:
	v_add_u32_e32 v0, 0x200, v63
	ds_read2_b32 v[20:21], v0 offset0:7 offset1:151
	ds_read_b32 v2, v63 offset:1692
	s_waitcnt lgkmcnt(1)
	v_mov_b32_e32 v0, v21
	v_mov_b32_e32 v1, v20
.LBB0_25:
	s_or_b64 exec, exec, s[4:5]
	v_add_f32_e32 v11, v42, v49
	v_add_f32_e32 v69, v11, v52
	;; [unrolled: 1-line block ×3, first 2 shown]
	v_fmac_f32_e32 v42, -0.5, v11
	v_sub_f32_e32 v11, v48, v51
	v_fmamk_f32 v48, v11, 0xbf5db3d7, v42
	v_fmac_f32_e32 v42, 0x3f5db3d7, v11
	v_add_f32_e32 v11, v32, v50
	v_add_f32_e32 v49, v11, v54
	;; [unrolled: 1-line block ×3, first 2 shown]
	v_fma_f32 v32, -0.5, v11, v32
	v_sub_f32_e32 v11, v40, v53
	v_fmamk_f32 v40, v11, 0xbf5db3d7, v32
	v_fmac_f32_e32 v32, 0x3f5db3d7, v11
	v_add_f32_e32 v11, v33, v55
	v_add_f32_e32 v50, v11, v41
	;; [unrolled: 1-line block ×3, first 2 shown]
	v_fmac_f32_e32 v33, -0.5, v11
	v_sub_f32_e32 v11, v39, v38
	v_fmamk_f32 v41, v11, 0xbf5db3d7, v33
	v_fmac_f32_e32 v33, 0x3f5db3d7, v11
	v_add_f32_e32 v11, v30, v58
	v_add_f32_e32 v51, v11, v61
	;; [unrolled: 1-line block ×3, first 2 shown]
	v_fma_f32 v30, -0.5, v11, v30
	v_sub_f32_e32 v11, v56, v60
	v_fmamk_f32 v52, v11, 0xbf5db3d7, v30
	v_fmac_f32_e32 v30, 0x3f5db3d7, v11
	v_add_f32_e32 v11, v31, v57
	v_add_f32_e32 v53, v11, v62
	;; [unrolled: 1-line block ×3, first 2 shown]
	v_fmac_f32_e32 v31, -0.5, v11
	v_sub_f32_e32 v11, v59, v64
	v_sub_f32_e32 v20, v25, v3
	v_mov_b32_e32 v38, 0x3f5db3d7
	v_mov_b32_e32 v39, v10
	;; [unrolled: 1-line block ×3, first 2 shown]
	v_fmamk_f32 v54, v11, 0xbf5db3d7, v31
	v_fmac_f32_e32 v31, 0x3f5db3d7, v11
	v_add_f32_e32 v11, v36, v34
	v_pk_mul_f32 v[36:37], v[38:39], v[20:21]
	v_pk_add_f32 v[20:21], v[38:39], v[20:21]
	v_fmac_f32_e32 v10, -0.5, v11
	v_mov_b32_e32 v37, v21
	v_mov_b32_e32 v11, v34
	v_pk_add_f32 v[20:21], v[36:37], v[10:11]
	v_add_u32_e32 v3, 0x400, v66
	s_waitcnt lgkmcnt(0)
	; wave barrier
	s_waitcnt lgkmcnt(0)
	ds_write2_b32 v63, v69, v48 offset1:48
	ds_write_b32 v63, v42 offset:384
	ds_write2_b32 v35, v49, v40 offset1:48
	ds_write_b32 v35, v32 offset:384
	ds_write_b32 v68, v41 offset:24
	ds_write2_b32 v67, v50, v33 offset0:144 offset1:240
	ds_write2_b32 v65, v51, v52 offset1:48
	ds_write_b32 v65, v30 offset:384
	ds_write2_b32 v3, v53, v54 offset0:32 offset1:80
	ds_write_b32 v66, v31 offset:1536
	s_and_saveexec_b64 s[4:5], s[2:3]
	s_xor_b64 s[4:5], exec, s[4:5]
; %bb.26:
                                        ; implicit-def: $vgpr43
                                        ; implicit-def: $vgpr5
; %bb.27:
	s_or_saveexec_b64 s[4:5], s[4:5]
	v_sub_f32_e32 v11, v10, v36
	s_xor_b64 exec, exec, s[4:5]
	s_cbranch_execz .LBB0_29
; %bb.28:
	v_mov_b32_e32 v3, 2
	v_lshlrev_b32_sdwa v3, v3, v43 dst_sel:DWORD dst_unused:UNUSED_PAD src0_sel:DWORD src1_sel:BYTE_0
	v_add3_u32 v3, 0, v3, v5
	v_add_u32_e32 v5, 0x400, v3
	ds_write2_b32 v5, v21, v11 offset0:32 offset1:80
	ds_write_b32 v3, v20 offset:1536
.LBB0_29:
	s_or_b64 exec, exec, s[4:5]
	v_add_u32_e32 v3, 0x200, v63
	s_waitcnt lgkmcnt(0)
	; wave barrier
	s_waitcnt lgkmcnt(0)
	ds_read_b32 v25, v72
	ds_read2_b32 v[42:43], v63 offset0:144 offset1:171
	ds_read2_b32 v[32:33], v3 offset0:124 offset1:160
	;; [unrolled: 1-line block ×3, first 2 shown]
	v_add_u32_e32 v3, 0x400, v63
	ds_read2_b32 v[40:41], v3 offset0:59 offset1:86
	ds_read2_b32 v[36:37], v63 offset0:198 offset1:225
	;; [unrolled: 1-line block ×4, first 2 shown]
	s_and_saveexec_b64 s[4:5], s[2:3]
	s_xor_b64 s[2:3], exec, s[4:5]
	s_cbranch_execnz .LBB0_33
; %bb.30:
	s_andn2_saveexec_b64 s[2:3], s[2:3]
	s_cbranch_execnz .LBB0_34
.LBB0_31:
	s_or_b64 exec, exec, s[2:3]
	s_and_saveexec_b64 s[2:3], vcc
	s_cbranch_execnz .LBB0_35
.LBB0_32:
	s_endpgm
.LBB0_33:
                                        ; implicit-def: $vgpr63
	s_andn2_saveexec_b64 s[2:3], s[2:3]
	s_cbranch_execz .LBB0_31
.LBB0_34:
	v_add_u32_e32 v3, 0x200, v63
	ds_read2_b32 v[10:11], v3 offset0:7 offset1:151
	ds_read_b32 v20, v63 offset:1692
	s_waitcnt lgkmcnt(1)
	v_mov_b32_e32 v21, v10
	s_or_b64 exec, exec, s[2:3]
	s_and_saveexec_b64 s[2:3], vcc
	s_cbranch_execz .LBB0_32
.LBB0_35:
	global_load_dwordx4 v[48:51], v[16:17], off offset:1128
	v_lshlrev_b32_e32 v16, 1, v45
	v_mov_b32_e32 v17, 0
	v_mov_b32_e32 v3, 0x6c
	v_lshl_add_u64 v[64:65], v[16:17], 3, s[8:9]
	v_lshlrev_b32_e32 v16, 1, v47
	v_lshl_add_u64 v[60:61], v[16:17], 3, s[8:9]
	v_lshl_add_u32 v16, v4, 1, v3
	v_lshl_add_u64 v[52:53], v[16:17], 3, s[8:9]
	v_lshlrev_b32_e32 v16, 1, v46
	global_load_dwordx4 v[52:55], v[52:53], off offset:1128
	v_lshl_add_u64 v[46:47], v[16:17], 3, s[8:9]
	global_load_dwordx4 v[56:59], v[46:47], off offset:1128
	s_waitcnt lgkmcnt(5)
	v_mov_b32_e32 v10, v33
	global_load_dwordx4 v[60:63], v[60:61], off offset:1128
	v_mov_b32_e32 v68, v43
	global_load_dwordx4 v[64:67], v[64:65], off offset:1128
	v_mov_b32_e32 v16, v9
	v_mov_b32_e32 v46, v9
	;; [unrolled: 1-line block ×4, first 2 shown]
	s_mov_b32 s2, 0x3f5db3d7
	v_mov_b32_e32 v5, v17
	v_lshl_add_u64 v[6:7], v[4:5], 3, v[6:7]
	s_waitcnt vmcnt(4)
	v_pk_mul_f32 v[42:43], v[42:43], v[48:49] op_sel_hi:[0,1]
	v_pk_fma_f32 v[74:75], v[28:29], v[48:49], v[42:43] op_sel:[0,0,1] op_sel_hi:[1,1,0] neg_lo:[0,0,1] neg_hi:[0,0,1]
	v_pk_fma_f32 v[28:29], v[28:29], v[48:49], v[42:43] op_sel:[0,0,1] op_sel_hi:[0,1,0]
	v_pk_mul_f32 v[48:49], v[10:11], v[50:51] op_sel_hi:[0,1]
	v_pk_fma_f32 v[76:77], v[16:17], v[50:51], v[48:49] op_sel:[0,0,1] op_sel_hi:[1,1,0] neg_lo:[0,0,1] neg_hi:[0,0,1]
	v_pk_fma_f32 v[46:47], v[46:47], v[50:51], v[48:49] op_sel:[0,0,1] op_sel_hi:[0,1,0]
	v_mov_b32_e32 v75, v29
	v_mov_b32_e32 v77, v47
	s_waitcnt lgkmcnt(3)
	v_mov_b32_e32 v10, v41
	v_pk_add_f32 v[28:29], v[24:25], v[74:75]
	v_pk_add_f32 v[46:47], v[74:75], v[76:77]
	v_pk_add_f32 v[48:49], v[74:75], v[76:77] neg_lo:[0,1] neg_hi:[0,1]
	v_mov_b32_e32 v42, v26
	v_mov_b32_e32 v16, v23
	;; [unrolled: 1-line block ×3, first 2 shown]
	v_pk_add_f32 v[28:29], v[28:29], v[76:77]
	v_pk_fma_f32 v[24:25], v[46:47], 0.5, v[24:25] op_sel_hi:[1,0,1] neg_lo:[1,0,0] neg_hi:[1,0,0]
	v_pk_mul_f32 v[46:47], v[48:49], s[2:3] op_sel_hi:[1,0]
	s_waitcnt vmcnt(3) lgkmcnt(2)
	v_pk_mul_f32 v[48:49], v[36:37], v[52:53] op_sel_hi:[0,1]
	v_pk_mul_f32 v[50:51], v[10:11], v[54:55] op_sel_hi:[0,1]
	v_mov_b32_e32 v43, v38
	v_mov_b32_e32 v38, v27
	global_store_dwordx2 v[6:7], v[28:29], off
	v_pk_add_f32 v[28:29], v[24:25], v[46:47] op_sel:[0,1] op_sel_hi:[1,0]
	v_pk_add_f32 v[24:25], v[24:25], v[46:47] op_sel:[0,1] op_sel_hi:[1,0] neg_lo:[0,1] neg_hi:[0,1]
	s_waitcnt vmcnt(3)
	v_pk_mul_f32 v[46:47], v[68:69], v[56:57] op_sel_hi:[0,1]
	v_pk_mul_f32 v[40:41], v[40:41], v[58:59] op_sel_hi:[0,1]
	v_pk_fma_f32 v[68:69], v[18:19], v[52:53], v[48:49] op_sel:[0,0,1] op_sel_hi:[1,1,0] neg_lo:[0,0,1] neg_hi:[0,0,1]
	v_pk_fma_f32 v[48:49], v[18:19], v[52:53], v[48:49] op_sel:[0,0,1] op_sel_hi:[0,1,0]
	v_pk_fma_f32 v[52:53], v[16:17], v[54:55], v[50:51] op_sel:[0,0,1] op_sel_hi:[1,1,0] neg_lo:[0,0,1] neg_hi:[0,0,1]
	v_pk_fma_f32 v[26:27], v[26:27], v[54:55], v[50:51] op_sel:[0,0,1] op_sel_hi:[0,1,0]
	v_mov_b32_e32 v50, v28
	v_mov_b32_e32 v51, v25
	;; [unrolled: 1-line block ×3, first 2 shown]
	v_pk_fma_f32 v[28:29], v[70:71], v[56:57], v[46:47] op_sel:[0,0,1] op_sel_hi:[1,1,0] neg_lo:[0,0,1] neg_hi:[0,0,1]
	v_pk_fma_f32 v[46:47], v[72:73], v[56:57], v[46:47] op_sel:[0,0,1] op_sel_hi:[0,1,0]
	v_pk_fma_f32 v[54:55], v[22:23], v[58:59], v[40:41] op_sel:[0,0,1] op_sel_hi:[1,1,0] neg_lo:[0,0,1] neg_hi:[0,0,1]
	v_pk_fma_f32 v[22:23], v[22:23], v[58:59], v[40:41] op_sel:[0,0,1] op_sel_hi:[0,1,0]
	v_mov_b32_e32 v69, v49
	v_mov_b32_e32 v53, v27
	global_store_dwordx2 v[6:7], v[50:51], off offset:1152
	global_store_dwordx2 v[6:7], v[24:25], off offset:2304
	v_mov_b32_e32 v29, v47
	v_mov_b32_e32 v55, v23
	v_pk_add_f32 v[22:23], v[38:39], v[68:69]
	v_pk_add_f32 v[24:25], v[68:69], v[52:53]
	v_pk_add_f32 v[26:27], v[68:69], v[52:53] neg_lo:[0,1] neg_hi:[0,1]
	v_pk_add_f32 v[40:41], v[42:43], v[28:29]
	v_pk_add_f32 v[22:23], v[22:23], v[52:53]
	v_pk_fma_f32 v[24:25], v[24:25], 0.5, v[38:39] op_sel_hi:[1,0,1] neg_lo:[1,0,0] neg_hi:[1,0,0]
	v_pk_mul_f32 v[26:27], v[26:27], s[2:3] op_sel_hi:[1,0]
	v_pk_add_f32 v[46:47], v[28:29], v[54:55]
	v_pk_add_f32 v[28:29], v[28:29], v[54:55] neg_lo:[0,1] neg_hi:[0,1]
	v_pk_add_f32 v[38:39], v[40:41], v[54:55]
	global_store_dwordx2 v[6:7], v[22:23], off offset:432
	v_pk_add_f32 v[22:23], v[24:25], v[26:27] op_sel:[0,1] op_sel_hi:[1,0]
	v_pk_add_f32 v[24:25], v[24:25], v[26:27] op_sel:[0,1] op_sel_hi:[1,0] neg_lo:[0,1] neg_hi:[0,1]
	v_mov_b32_e32 v10, v37
	v_pk_fma_f32 v[40:41], v[46:47], 0.5, v[42:43] op_sel_hi:[1,0,1] neg_lo:[1,0,0] neg_hi:[1,0,0]
	v_pk_mul_f32 v[28:29], v[28:29], s[2:3] op_sel_hi:[1,0]
	global_store_dwordx2 v[6:7], v[38:39], off offset:216
	v_mov_b32_e32 v38, v22
	v_mov_b32_e32 v39, v25
	;; [unrolled: 1-line block ×3, first 2 shown]
	s_waitcnt vmcnt(6)
	v_pk_mul_f32 v[22:23], v[10:11], v[60:61] op_sel_hi:[0,1]
	v_mov_b32_e32 v10, v19
	v_mov_b32_e32 v16, v19
	v_pk_add_f32 v[26:27], v[40:41], v[28:29] op_sel:[0,1] op_sel_hi:[1,0]
	v_pk_add_f32 v[28:29], v[40:41], v[28:29] op_sel:[0,1] op_sel_hi:[1,0] neg_lo:[0,1] neg_hi:[0,1]
	v_pk_fma_f32 v[18:19], v[10:11], v[60:61], v[22:23] op_sel:[0,0,1] op_sel_hi:[1,1,0] neg_lo:[0,0,1] neg_hi:[0,0,1]
	v_pk_fma_f32 v[22:23], v[16:17], v[60:61], v[22:23] op_sel:[0,0,1] op_sel_hi:[0,1,0]
	v_mov_b32_e32 v40, v26
	v_mov_b32_e32 v41, v29
	;; [unrolled: 1-line block ×3, first 2 shown]
	s_waitcnt lgkmcnt(0)
	v_pk_mul_f32 v[22:23], v[34:35], v[62:63] op_sel_hi:[0,1]
	v_mov_b32_e32 v29, v27
	global_store_dwordx2 v[6:7], v[40:41], off offset:1368
	global_store_dwordx2 v[6:7], v[28:29], off offset:2520
	;; [unrolled: 1-line block ×4, first 2 shown]
	v_pk_fma_f32 v[24:25], v[14:15], v[62:63], v[22:23] op_sel:[0,0,1] op_sel_hi:[1,1,0] neg_lo:[0,0,1] neg_hi:[0,0,1]
	v_pk_fma_f32 v[22:23], v[14:15], v[62:63], v[22:23] op_sel:[0,0,1] op_sel_hi:[0,1,0]
	v_mov_b32_e32 v25, v23
	v_mov_b32_e32 v22, v12
	;; [unrolled: 1-line block ×3, first 2 shown]
	v_pk_add_f32 v[26:27], v[22:23], v[18:19]
	v_mov_b32_e32 v10, v15
	v_pk_add_f32 v[26:27], v[26:27], v[24:25]
	global_store_dwordx2 v[6:7], v[26:27], off offset:648
	v_pk_add_f32 v[26:27], v[18:19], v[24:25]
	v_pk_add_f32 v[18:19], v[18:19], v[24:25] neg_lo:[0,1] neg_hi:[0,1]
	v_pk_fma_f32 v[22:23], v[26:27], 0.5, v[22:23] op_sel_hi:[1,0,1] neg_lo:[1,0,0] neg_hi:[1,0,0]
	v_pk_mul_f32 v[18:19], v[18:19], s[2:3] op_sel_hi:[1,0]
	s_mov_b32 s3, 0x38e38e39
	v_pk_add_f32 v[24:25], v[22:23], v[18:19] op_sel:[0,1] op_sel_hi:[1,0]
	v_pk_add_f32 v[18:19], v[22:23], v[18:19] op_sel:[0,1] op_sel_hi:[1,0] neg_lo:[0,1] neg_hi:[0,1]
	v_mov_b32_e32 v22, v24
	v_mov_b32_e32 v23, v19
	global_store_dwordx2 v[6:7], v[22:23], off offset:1800
	s_waitcnt vmcnt(11)
	v_pk_mul_f32 v[22:23], v[32:33], v[64:65] op_sel_hi:[0,1]
	v_mov_b32_e32 v19, v25
	v_pk_fma_f32 v[24:25], v[8:9], v[64:65], v[22:23] op_sel:[0,0,1] op_sel_hi:[1,1,0] neg_lo:[0,0,1] neg_hi:[0,0,1]
	v_pk_fma_f32 v[8:9], v[8:9], v[64:65], v[22:23] op_sel:[0,0,1] op_sel_hi:[0,1,0]
	v_mov_b32_e32 v8, v35
	v_mul_hi_u32 v3, v45, s3
	v_mov_b32_e32 v25, v9
	v_pk_mul_f32 v[8:9], v[8:9], v[66:67] op_sel_hi:[0,1]
	v_mov_b32_e32 v12, v15
	v_lshrrev_b32_e32 v3, 5, v3
	v_pk_fma_f32 v[14:15], v[10:11], v[66:67], v[8:9] op_sel:[0,0,1] op_sel_hi:[1,1,0] neg_lo:[0,0,1] neg_hi:[0,0,1]
	v_pk_fma_f32 v[8:9], v[12:13], v[66:67], v[8:9] op_sel:[0,0,1] op_sel_hi:[0,1,0]
	v_mov_b32_e32 v30, v13
	v_mul_u32_u24_e32 v16, 0x120, v3
	v_mov_b32_e32 v15, v9
	v_pk_add_f32 v[8:9], v[30:31], v[24:25]
	global_store_dwordx2 v[6:7], v[18:19], off offset:2952
	v_lshl_add_u64 v[18:19], v[16:17], 3, v[6:7]
	v_pk_add_f32 v[8:9], v[8:9], v[14:15]
	global_store_dwordx2 v[18:19], v[8:9], off offset:864
	v_pk_add_f32 v[8:9], v[24:25], v[14:15]
	v_pk_add_f32 v[12:13], v[24:25], v[14:15] neg_lo:[0,1] neg_hi:[0,1]
	v_pk_fma_f32 v[8:9], v[8:9], 0.5, v[30:31] op_sel_hi:[1,0,1] neg_lo:[1,0,0] neg_hi:[1,0,0]
	v_pk_mul_f32 v[12:13], v[12:13], s[2:3] op_sel_hi:[1,0]
	s_nop 0
	v_pk_add_f32 v[14:15], v[8:9], v[12:13] op_sel:[0,1] op_sel_hi:[1,0]
	v_pk_add_f32 v[8:9], v[8:9], v[12:13] op_sel:[0,1] op_sel_hi:[1,0] neg_lo:[0,1] neg_hi:[0,1]
	v_mov_b32_e32 v12, v14
	v_mov_b32_e32 v13, v9
	;; [unrolled: 1-line block ×3, first 2 shown]
	global_store_dwordx2 v[18:19], v[12:13], off offset:2016
	global_store_dwordx2 v[18:19], v[8:9], off offset:3168
	s_and_b64 exec, exec, s[0:1]
	s_cbranch_execz .LBB0_32
; %bb.36:
	v_add_u32_e32 v3, -9, v4
	v_cndmask_b32_e64 v3, v3, v44, s[0:1]
	v_lshlrev_b32_e32 v16, 1, v3
	v_lshl_add_u64 v[4:5], v[16:17], 3, s[8:9]
	global_load_dwordx4 v[12:15], v[4:5], off offset:1128
	v_mov_b32_e32 v4, v11
	s_waitcnt vmcnt(0)
	v_pk_mul_f32 v[4:5], v[4:5], v[12:13] op_sel_hi:[0,1]
	v_pk_mul_f32 v[8:9], v[20:21], v[14:15] op_sel_hi:[0,1]
	v_mov_b32_e32 v20, v1
	v_pk_fma_f32 v[10:11], v[0:1], v[12:13], v[4:5] op_sel:[0,0,1] op_sel_hi:[1,1,0] neg_lo:[0,0,1] neg_hi:[0,0,1]
	v_pk_fma_f32 v[0:1], v[0:1], v[12:13], v[4:5] op_sel:[0,0,1] op_sel_hi:[0,1,0]
	v_pk_fma_f32 v[4:5], v[2:3], v[14:15], v[8:9] op_sel:[0,0,1] op_sel_hi:[1,1,0] neg_lo:[0,0,1] neg_hi:[0,0,1]
	v_pk_fma_f32 v[2:3], v[2:3], v[14:15], v[8:9] op_sel:[0,0,1] op_sel_hi:[0,1,0]
	v_mov_b32_e32 v11, v1
	v_mov_b32_e32 v5, v3
	v_pk_add_f32 v[0:1], v[20:21], v[10:11]
	v_pk_add_f32 v[2:3], v[10:11], v[4:5]
	v_pk_add_f32 v[8:9], v[10:11], v[4:5] neg_lo:[0,1] neg_hi:[0,1]
	v_pk_add_f32 v[0:1], v[0:1], v[4:5]
	v_pk_fma_f32 v[2:3], -0.5, v[2:3], v[20:21] op_sel_hi:[0,1,1]
	v_pk_mul_f32 v[4:5], v[8:9], s[2:3] op_sel_hi:[1,0]
	global_store_dwordx2 v[6:7], v[0:1], off offset:1080
	v_pk_add_f32 v[8:9], v[2:3], v[4:5] op_sel:[0,1] op_sel_hi:[1,0]
	v_pk_add_f32 v[2:3], v[2:3], v[4:5] op_sel:[0,1] op_sel_hi:[1,0] neg_lo:[0,1] neg_hi:[0,1]
	v_mov_b32_e32 v0, v8
	v_mov_b32_e32 v1, v3
	;; [unrolled: 1-line block ×3, first 2 shown]
	global_store_dwordx2 v[6:7], v[0:1], off offset:2232
	global_store_dwordx2 v[6:7], v[2:3], off offset:3384
	s_endpgm
	.section	.rodata,"a",@progbits
	.p2align	6, 0x0
	.amdhsa_kernel fft_rtc_fwd_len432_factors_3_16_3_3_wgs_54_tpt_27_halfLds_sp_ip_CI_unitstride_sbrr_dirReg
		.amdhsa_group_segment_fixed_size 0
		.amdhsa_private_segment_fixed_size 0
		.amdhsa_kernarg_size 88
		.amdhsa_user_sgpr_count 2
		.amdhsa_user_sgpr_dispatch_ptr 0
		.amdhsa_user_sgpr_queue_ptr 0
		.amdhsa_user_sgpr_kernarg_segment_ptr 1
		.amdhsa_user_sgpr_dispatch_id 0
		.amdhsa_user_sgpr_kernarg_preload_length 0
		.amdhsa_user_sgpr_kernarg_preload_offset 0
		.amdhsa_user_sgpr_private_segment_size 0
		.amdhsa_uses_dynamic_stack 0
		.amdhsa_enable_private_segment 0
		.amdhsa_system_sgpr_workgroup_id_x 1
		.amdhsa_system_sgpr_workgroup_id_y 0
		.amdhsa_system_sgpr_workgroup_id_z 0
		.amdhsa_system_sgpr_workgroup_info 0
		.amdhsa_system_vgpr_workitem_id 0
		.amdhsa_next_free_vgpr 85
		.amdhsa_next_free_sgpr 22
		.amdhsa_accum_offset 88
		.amdhsa_reserve_vcc 1
		.amdhsa_float_round_mode_32 0
		.amdhsa_float_round_mode_16_64 0
		.amdhsa_float_denorm_mode_32 3
		.amdhsa_float_denorm_mode_16_64 3
		.amdhsa_dx10_clamp 1
		.amdhsa_ieee_mode 1
		.amdhsa_fp16_overflow 0
		.amdhsa_tg_split 0
		.amdhsa_exception_fp_ieee_invalid_op 0
		.amdhsa_exception_fp_denorm_src 0
		.amdhsa_exception_fp_ieee_div_zero 0
		.amdhsa_exception_fp_ieee_overflow 0
		.amdhsa_exception_fp_ieee_underflow 0
		.amdhsa_exception_fp_ieee_inexact 0
		.amdhsa_exception_int_div_zero 0
	.end_amdhsa_kernel
	.text
.Lfunc_end0:
	.size	fft_rtc_fwd_len432_factors_3_16_3_3_wgs_54_tpt_27_halfLds_sp_ip_CI_unitstride_sbrr_dirReg, .Lfunc_end0-fft_rtc_fwd_len432_factors_3_16_3_3_wgs_54_tpt_27_halfLds_sp_ip_CI_unitstride_sbrr_dirReg
                                        ; -- End function
	.section	.AMDGPU.csdata,"",@progbits
; Kernel info:
; codeLenInByte = 7868
; NumSgprs: 28
; NumVgprs: 85
; NumAgprs: 0
; TotalNumVgprs: 85
; ScratchSize: 0
; MemoryBound: 0
; FloatMode: 240
; IeeeMode: 1
; LDSByteSize: 0 bytes/workgroup (compile time only)
; SGPRBlocks: 3
; VGPRBlocks: 10
; NumSGPRsForWavesPerEU: 28
; NumVGPRsForWavesPerEU: 85
; AccumOffset: 88
; Occupancy: 5
; WaveLimiterHint : 1
; COMPUTE_PGM_RSRC2:SCRATCH_EN: 0
; COMPUTE_PGM_RSRC2:USER_SGPR: 2
; COMPUTE_PGM_RSRC2:TRAP_HANDLER: 0
; COMPUTE_PGM_RSRC2:TGID_X_EN: 1
; COMPUTE_PGM_RSRC2:TGID_Y_EN: 0
; COMPUTE_PGM_RSRC2:TGID_Z_EN: 0
; COMPUTE_PGM_RSRC2:TIDIG_COMP_CNT: 0
; COMPUTE_PGM_RSRC3_GFX90A:ACCUM_OFFSET: 21
; COMPUTE_PGM_RSRC3_GFX90A:TG_SPLIT: 0
	.text
	.p2alignl 6, 3212836864
	.fill 256, 4, 3212836864
	.type	__hip_cuid_a7e60669ab2ebdfb,@object ; @__hip_cuid_a7e60669ab2ebdfb
	.section	.bss,"aw",@nobits
	.globl	__hip_cuid_a7e60669ab2ebdfb
__hip_cuid_a7e60669ab2ebdfb:
	.byte	0                               ; 0x0
	.size	__hip_cuid_a7e60669ab2ebdfb, 1

	.ident	"AMD clang version 19.0.0git (https://github.com/RadeonOpenCompute/llvm-project roc-6.4.0 25133 c7fe45cf4b819c5991fe208aaa96edf142730f1d)"
	.section	".note.GNU-stack","",@progbits
	.addrsig
	.addrsig_sym __hip_cuid_a7e60669ab2ebdfb
	.amdgpu_metadata
---
amdhsa.kernels:
  - .agpr_count:     0
    .args:
      - .actual_access:  read_only
        .address_space:  global
        .offset:         0
        .size:           8
        .value_kind:     global_buffer
      - .offset:         8
        .size:           8
        .value_kind:     by_value
      - .actual_access:  read_only
        .address_space:  global
        .offset:         16
        .size:           8
        .value_kind:     global_buffer
      - .actual_access:  read_only
        .address_space:  global
        .offset:         24
        .size:           8
        .value_kind:     global_buffer
      - .offset:         32
        .size:           8
        .value_kind:     by_value
      - .actual_access:  read_only
        .address_space:  global
        .offset:         40
        .size:           8
        .value_kind:     global_buffer
      - .actual_access:  read_only
        .address_space:  global
        .offset:         48
        .size:           8
        .value_kind:     global_buffer
      - .offset:         56
        .size:           4
        .value_kind:     by_value
      - .actual_access:  read_only
        .address_space:  global
        .offset:         64
        .size:           8
        .value_kind:     global_buffer
      - .actual_access:  read_only
        .address_space:  global
        .offset:         72
        .size:           8
        .value_kind:     global_buffer
      - .address_space:  global
        .offset:         80
        .size:           8
        .value_kind:     global_buffer
    .group_segment_fixed_size: 0
    .kernarg_segment_align: 8
    .kernarg_segment_size: 88
    .language:       OpenCL C
    .language_version:
      - 2
      - 0
    .max_flat_workgroup_size: 54
    .name:           fft_rtc_fwd_len432_factors_3_16_3_3_wgs_54_tpt_27_halfLds_sp_ip_CI_unitstride_sbrr_dirReg
    .private_segment_fixed_size: 0
    .sgpr_count:     28
    .sgpr_spill_count: 0
    .symbol:         fft_rtc_fwd_len432_factors_3_16_3_3_wgs_54_tpt_27_halfLds_sp_ip_CI_unitstride_sbrr_dirReg.kd
    .uniform_work_group_size: 1
    .uses_dynamic_stack: false
    .vgpr_count:     85
    .vgpr_spill_count: 0
    .wavefront_size: 64
amdhsa.target:   amdgcn-amd-amdhsa--gfx950
amdhsa.version:
  - 1
  - 2
...

	.end_amdgpu_metadata
